;; amdgpu-corpus repo=ROCm/rocFFT kind=compiled arch=gfx1201 opt=O3
	.text
	.amdgcn_target "amdgcn-amd-amdhsa--gfx1201"
	.amdhsa_code_object_version 6
	.protected	fft_rtc_fwd_len330_factors_11_10_3_wgs_99_tpt_33_sp_ip_CI_unitstride_sbrr_dirReg ; -- Begin function fft_rtc_fwd_len330_factors_11_10_3_wgs_99_tpt_33_sp_ip_CI_unitstride_sbrr_dirReg
	.globl	fft_rtc_fwd_len330_factors_11_10_3_wgs_99_tpt_33_sp_ip_CI_unitstride_sbrr_dirReg
	.p2align	8
	.type	fft_rtc_fwd_len330_factors_11_10_3_wgs_99_tpt_33_sp_ip_CI_unitstride_sbrr_dirReg,@function
fft_rtc_fwd_len330_factors_11_10_3_wgs_99_tpt_33_sp_ip_CI_unitstride_sbrr_dirReg: ; @fft_rtc_fwd_len330_factors_11_10_3_wgs_99_tpt_33_sp_ip_CI_unitstride_sbrr_dirReg
; %bb.0:
	s_load_b128 s[4:7], s[0:1], 0x0
	v_mul_u32_u24_e32 v1, 0x7c2, v0
	s_clause 0x1
	s_load_b64 s[8:9], s[0:1], 0x50
	s_load_b64 s[10:11], s[0:1], 0x18
	v_mov_b32_e32 v5, 0
	v_lshrrev_b32_e32 v1, 16, v1
	s_delay_alu instid0(VALU_DEP_1) | instskip(SKIP_3) | instid1(VALU_DEP_1)
	v_mad_co_u64_u32 v[1:2], null, ttmp9, 3, v[1:2]
	v_mov_b32_e32 v3, 0
	v_mov_b32_e32 v4, 0
	;; [unrolled: 1-line block ×4, first 2 shown]
	s_wait_kmcnt 0x0
	v_cmp_lt_u64_e64 s2, s[6:7], 2
	v_mov_b32_e32 v9, v1
	s_delay_alu instid0(VALU_DEP_2)
	s_and_b32 vcc_lo, exec_lo, s2
	s_cbranch_vccnz .LBB0_8
; %bb.1:
	s_load_b64 s[2:3], s[0:1], 0x10
	v_dual_mov_b32 v3, 0 :: v_dual_mov_b32 v8, v2
	v_dual_mov_b32 v4, 0 :: v_dual_mov_b32 v7, v1
	s_add_nc_u64 s[12:13], s[10:11], 8
	s_mov_b64 s[14:15], 1
	s_wait_kmcnt 0x0
	s_add_nc_u64 s[16:17], s[2:3], 8
	s_mov_b32 s3, 0
.LBB0_2:                                ; =>This Inner Loop Header: Depth=1
	s_load_b64 s[18:19], s[16:17], 0x0
                                        ; implicit-def: $vgpr9_vgpr10
	s_mov_b32 s2, exec_lo
	s_wait_kmcnt 0x0
	v_or_b32_e32 v6, s19, v8
	s_delay_alu instid0(VALU_DEP_1)
	v_cmpx_ne_u64_e32 0, v[5:6]
	s_wait_alu 0xfffe
	s_xor_b32 s20, exec_lo, s2
	s_cbranch_execz .LBB0_4
; %bb.3:                                ;   in Loop: Header=BB0_2 Depth=1
	s_cvt_f32_u32 s2, s18
	s_cvt_f32_u32 s21, s19
	s_sub_nc_u64 s[24:25], 0, s[18:19]
	s_wait_alu 0xfffe
	s_delay_alu instid0(SALU_CYCLE_1) | instskip(SKIP_1) | instid1(SALU_CYCLE_2)
	s_fmamk_f32 s2, s21, 0x4f800000, s2
	s_wait_alu 0xfffe
	v_s_rcp_f32 s2, s2
	s_delay_alu instid0(TRANS32_DEP_1) | instskip(SKIP_1) | instid1(SALU_CYCLE_2)
	s_mul_f32 s2, s2, 0x5f7ffffc
	s_wait_alu 0xfffe
	s_mul_f32 s21, s2, 0x2f800000
	s_wait_alu 0xfffe
	s_delay_alu instid0(SALU_CYCLE_2) | instskip(SKIP_1) | instid1(SALU_CYCLE_2)
	s_trunc_f32 s21, s21
	s_wait_alu 0xfffe
	s_fmamk_f32 s2, s21, 0xcf800000, s2
	s_cvt_u32_f32 s23, s21
	s_wait_alu 0xfffe
	s_delay_alu instid0(SALU_CYCLE_1) | instskip(SKIP_1) | instid1(SALU_CYCLE_2)
	s_cvt_u32_f32 s22, s2
	s_wait_alu 0xfffe
	s_mul_u64 s[26:27], s[24:25], s[22:23]
	s_wait_alu 0xfffe
	s_mul_hi_u32 s29, s22, s27
	s_mul_i32 s28, s22, s27
	s_mul_hi_u32 s2, s22, s26
	s_mul_i32 s30, s23, s26
	s_wait_alu 0xfffe
	s_add_nc_u64 s[28:29], s[2:3], s[28:29]
	s_mul_hi_u32 s21, s23, s26
	s_mul_hi_u32 s31, s23, s27
	s_add_co_u32 s2, s28, s30
	s_wait_alu 0xfffe
	s_add_co_ci_u32 s2, s29, s21
	s_mul_i32 s26, s23, s27
	s_add_co_ci_u32 s27, s31, 0
	s_wait_alu 0xfffe
	s_add_nc_u64 s[26:27], s[2:3], s[26:27]
	s_wait_alu 0xfffe
	v_add_co_u32 v2, s2, s22, s26
	s_delay_alu instid0(VALU_DEP_1) | instskip(SKIP_1) | instid1(VALU_DEP_1)
	s_cmp_lg_u32 s2, 0
	s_add_co_ci_u32 s23, s23, s27
	v_readfirstlane_b32 s22, v2
	s_wait_alu 0xfffe
	s_delay_alu instid0(VALU_DEP_1)
	s_mul_u64 s[24:25], s[24:25], s[22:23]
	s_wait_alu 0xfffe
	s_mul_hi_u32 s27, s22, s25
	s_mul_i32 s26, s22, s25
	s_mul_hi_u32 s2, s22, s24
	s_mul_i32 s28, s23, s24
	s_wait_alu 0xfffe
	s_add_nc_u64 s[26:27], s[2:3], s[26:27]
	s_mul_hi_u32 s21, s23, s24
	s_mul_hi_u32 s22, s23, s25
	s_wait_alu 0xfffe
	s_add_co_u32 s2, s26, s28
	s_add_co_ci_u32 s2, s27, s21
	s_mul_i32 s24, s23, s25
	s_add_co_ci_u32 s25, s22, 0
	s_wait_alu 0xfffe
	s_add_nc_u64 s[24:25], s[2:3], s[24:25]
	s_wait_alu 0xfffe
	v_add_co_u32 v2, s2, v2, s24
	s_delay_alu instid0(VALU_DEP_1) | instskip(SKIP_1) | instid1(VALU_DEP_1)
	s_cmp_lg_u32 s2, 0
	s_add_co_ci_u32 s2, s23, s25
	v_mul_hi_u32 v6, v7, v2
	s_wait_alu 0xfffe
	v_mad_co_u64_u32 v[9:10], null, v7, s2, 0
	v_mad_co_u64_u32 v[11:12], null, v8, v2, 0
	;; [unrolled: 1-line block ×3, first 2 shown]
	s_delay_alu instid0(VALU_DEP_3) | instskip(SKIP_1) | instid1(VALU_DEP_4)
	v_add_co_u32 v2, vcc_lo, v6, v9
	s_wait_alu 0xfffd
	v_add_co_ci_u32_e32 v6, vcc_lo, 0, v10, vcc_lo
	s_delay_alu instid0(VALU_DEP_2) | instskip(SKIP_1) | instid1(VALU_DEP_2)
	v_add_co_u32 v2, vcc_lo, v2, v11
	s_wait_alu 0xfffd
	v_add_co_ci_u32_e32 v2, vcc_lo, v6, v12, vcc_lo
	s_wait_alu 0xfffd
	v_add_co_ci_u32_e32 v6, vcc_lo, 0, v14, vcc_lo
	s_delay_alu instid0(VALU_DEP_2) | instskip(SKIP_1) | instid1(VALU_DEP_2)
	v_add_co_u32 v2, vcc_lo, v2, v13
	s_wait_alu 0xfffd
	v_add_co_ci_u32_e32 v6, vcc_lo, 0, v6, vcc_lo
	s_delay_alu instid0(VALU_DEP_2) | instskip(SKIP_1) | instid1(VALU_DEP_3)
	v_mul_lo_u32 v11, s19, v2
	v_mad_co_u64_u32 v[9:10], null, s18, v2, 0
	v_mul_lo_u32 v12, s18, v6
	s_delay_alu instid0(VALU_DEP_2) | instskip(NEXT) | instid1(VALU_DEP_2)
	v_sub_co_u32 v9, vcc_lo, v7, v9
	v_add3_u32 v10, v10, v12, v11
	s_delay_alu instid0(VALU_DEP_1) | instskip(SKIP_1) | instid1(VALU_DEP_1)
	v_sub_nc_u32_e32 v11, v8, v10
	s_wait_alu 0xfffd
	v_subrev_co_ci_u32_e64 v11, s2, s19, v11, vcc_lo
	v_add_co_u32 v12, s2, v2, 2
	s_wait_alu 0xf1ff
	v_add_co_ci_u32_e64 v13, s2, 0, v6, s2
	v_sub_co_u32 v14, s2, v9, s18
	v_sub_co_ci_u32_e32 v10, vcc_lo, v8, v10, vcc_lo
	s_wait_alu 0xf1ff
	v_subrev_co_ci_u32_e64 v11, s2, 0, v11, s2
	s_delay_alu instid0(VALU_DEP_3) | instskip(NEXT) | instid1(VALU_DEP_3)
	v_cmp_le_u32_e32 vcc_lo, s18, v14
	v_cmp_eq_u32_e64 s2, s19, v10
	s_wait_alu 0xfffd
	v_cndmask_b32_e64 v14, 0, -1, vcc_lo
	v_cmp_le_u32_e32 vcc_lo, s19, v11
	s_wait_alu 0xfffd
	v_cndmask_b32_e64 v15, 0, -1, vcc_lo
	v_cmp_le_u32_e32 vcc_lo, s18, v9
	;; [unrolled: 3-line block ×3, first 2 shown]
	s_wait_alu 0xfffd
	v_cndmask_b32_e64 v16, 0, -1, vcc_lo
	v_cmp_eq_u32_e32 vcc_lo, s19, v11
	s_wait_alu 0xf1ff
	s_delay_alu instid0(VALU_DEP_2)
	v_cndmask_b32_e64 v9, v16, v9, s2
	s_wait_alu 0xfffd
	v_cndmask_b32_e32 v11, v15, v14, vcc_lo
	v_add_co_u32 v14, vcc_lo, v2, 1
	s_wait_alu 0xfffd
	v_add_co_ci_u32_e32 v15, vcc_lo, 0, v6, vcc_lo
	s_delay_alu instid0(VALU_DEP_3) | instskip(SKIP_1) | instid1(VALU_DEP_2)
	v_cmp_ne_u32_e32 vcc_lo, 0, v11
	s_wait_alu 0xfffd
	v_dual_cndmask_b32 v10, v15, v13 :: v_dual_cndmask_b32 v11, v14, v12
	v_cmp_ne_u32_e32 vcc_lo, 0, v9
	s_wait_alu 0xfffd
	s_delay_alu instid0(VALU_DEP_2) | instskip(NEXT) | instid1(VALU_DEP_3)
	v_cndmask_b32_e32 v10, v6, v10, vcc_lo
	v_cndmask_b32_e32 v9, v2, v11, vcc_lo
.LBB0_4:                                ;   in Loop: Header=BB0_2 Depth=1
	s_wait_alu 0xfffe
	s_and_not1_saveexec_b32 s2, s20
	s_cbranch_execz .LBB0_6
; %bb.5:                                ;   in Loop: Header=BB0_2 Depth=1
	v_cvt_f32_u32_e32 v2, s18
	s_sub_co_i32 s20, 0, s18
	s_delay_alu instid0(VALU_DEP_1) | instskip(NEXT) | instid1(TRANS32_DEP_1)
	v_rcp_iflag_f32_e32 v2, v2
	v_mul_f32_e32 v2, 0x4f7ffffe, v2
	s_delay_alu instid0(VALU_DEP_1) | instskip(SKIP_1) | instid1(VALU_DEP_1)
	v_cvt_u32_f32_e32 v2, v2
	s_wait_alu 0xfffe
	v_mul_lo_u32 v6, s20, v2
	s_delay_alu instid0(VALU_DEP_1) | instskip(NEXT) | instid1(VALU_DEP_1)
	v_mul_hi_u32 v6, v2, v6
	v_add_nc_u32_e32 v2, v2, v6
	s_delay_alu instid0(VALU_DEP_1) | instskip(NEXT) | instid1(VALU_DEP_1)
	v_mul_hi_u32 v2, v7, v2
	v_mul_lo_u32 v6, v2, s18
	v_add_nc_u32_e32 v9, 1, v2
	s_delay_alu instid0(VALU_DEP_2) | instskip(NEXT) | instid1(VALU_DEP_1)
	v_sub_nc_u32_e32 v6, v7, v6
	v_subrev_nc_u32_e32 v10, s18, v6
	v_cmp_le_u32_e32 vcc_lo, s18, v6
	s_wait_alu 0xfffd
	s_delay_alu instid0(VALU_DEP_2) | instskip(SKIP_2) | instid1(VALU_DEP_3)
	v_cndmask_b32_e32 v6, v6, v10, vcc_lo
	v_mov_b32_e32 v10, v5
	v_cndmask_b32_e32 v2, v2, v9, vcc_lo
	v_cmp_le_u32_e32 vcc_lo, s18, v6
	s_delay_alu instid0(VALU_DEP_2) | instskip(SKIP_1) | instid1(VALU_DEP_1)
	v_add_nc_u32_e32 v9, 1, v2
	s_wait_alu 0xfffd
	v_cndmask_b32_e32 v9, v2, v9, vcc_lo
.LBB0_6:                                ;   in Loop: Header=BB0_2 Depth=1
	s_wait_alu 0xfffe
	s_or_b32 exec_lo, exec_lo, s2
	s_load_b64 s[20:21], s[12:13], 0x0
	v_mul_lo_u32 v2, v10, s18
	v_mul_lo_u32 v6, v9, s19
	v_mad_co_u64_u32 v[11:12], null, v9, s18, 0
	s_add_nc_u64 s[14:15], s[14:15], 1
	s_add_nc_u64 s[12:13], s[12:13], 8
	s_wait_alu 0xfffe
	v_cmp_ge_u64_e64 s2, s[14:15], s[6:7]
	s_add_nc_u64 s[16:17], s[16:17], 8
	s_delay_alu instid0(VALU_DEP_2) | instskip(NEXT) | instid1(VALU_DEP_3)
	v_add3_u32 v2, v12, v6, v2
	v_sub_co_u32 v6, vcc_lo, v7, v11
	s_wait_alu 0xfffd
	s_delay_alu instid0(VALU_DEP_2) | instskip(SKIP_3) | instid1(VALU_DEP_2)
	v_sub_co_ci_u32_e32 v2, vcc_lo, v8, v2, vcc_lo
	s_and_b32 vcc_lo, exec_lo, s2
	s_wait_kmcnt 0x0
	v_mul_lo_u32 v7, s21, v6
	v_mul_lo_u32 v2, s20, v2
	v_mad_co_u64_u32 v[3:4], null, s20, v6, v[3:4]
	s_delay_alu instid0(VALU_DEP_1)
	v_add3_u32 v4, v7, v4, v2
	s_wait_alu 0xfffe
	s_cbranch_vccnz .LBB0_8
; %bb.7:                                ;   in Loop: Header=BB0_2 Depth=1
	v_dual_mov_b32 v7, v9 :: v_dual_mov_b32 v8, v10
	s_branch .LBB0_2
.LBB0_8:
	s_lshl_b64 s[2:3], s[6:7], 3
	v_mul_hi_u32 v2, 0xaaaaaaab, v1
	s_wait_alu 0xfffe
	s_add_nc_u64 s[2:3], s[10:11], s[2:3]
	s_load_b64 s[0:1], s[0:1], 0x20
	s_load_b64 s[2:3], s[2:3], 0x0
	v_mul_hi_u32 v5, 0x7c1f07d, v0
	s_delay_alu instid0(VALU_DEP_2) | instskip(NEXT) | instid1(VALU_DEP_1)
	v_lshrrev_b32_e32 v2, 1, v2
	v_lshl_add_u32 v6, v2, 1, v2
	s_delay_alu instid0(VALU_DEP_1)
	v_sub_nc_u32_e32 v1, v1, v6
	s_wait_kmcnt 0x0
	v_cmp_gt_u64_e32 vcc_lo, s[0:1], v[9:10]
	v_mul_lo_u32 v7, s2, v10
	v_mul_lo_u32 v8, s3, v9
	v_mad_co_u64_u32 v[2:3], null, s2, v9, v[3:4]
	v_mul_u32_u24_e32 v4, 33, v5
	v_mul_u32_u24_e32 v31, 0x14a, v1
	s_delay_alu instid0(VALU_DEP_2) | instskip(NEXT) | instid1(VALU_DEP_4)
	v_sub_nc_u32_e32 v26, v0, v4
	v_add3_u32 v3, v8, v3, v7
	s_delay_alu instid0(VALU_DEP_3) | instskip(NEXT) | instid1(VALU_DEP_3)
	v_lshlrev_b32_e32 v28, 3, v31
	v_lshlrev_b32_e32 v0, 3, v26
	s_delay_alu instid0(VALU_DEP_3)
	v_lshlrev_b64_e32 v[24:25], 3, v[2:3]
	s_and_saveexec_b32 s1, vcc_lo
	s_cbranch_execz .LBB0_10
; %bb.9:
	s_delay_alu instid0(VALU_DEP_2) | instskip(SKIP_1) | instid1(VALU_DEP_3)
	v_add3_u32 v21, 0, v28, v0
	v_mov_b32_e32 v27, 0
	v_add_co_u32 v3, s0, s8, v24
	s_wait_alu 0xf1ff
	v_add_co_ci_u32_e64 v4, s0, s9, v25, s0
	v_add_nc_u32_e32 v22, 0x800, v21
	v_lshlrev_b64_e32 v[1:2], 3, v[26:27]
	s_delay_alu instid0(VALU_DEP_1) | instskip(SKIP_1) | instid1(VALU_DEP_2)
	v_add_co_u32 v1, s0, v3, v1
	s_wait_alu 0xf1ff
	v_add_co_ci_u32_e64 v2, s0, v4, v2, s0
	s_clause 0x9
	global_load_b64 v[3:4], v[1:2], off
	global_load_b64 v[5:6], v[1:2], off offset:264
	global_load_b64 v[7:8], v[1:2], off offset:528
	global_load_b64 v[9:10], v[1:2], off offset:792
	global_load_b64 v[11:12], v[1:2], off offset:1056
	global_load_b64 v[13:14], v[1:2], off offset:1320
	global_load_b64 v[15:16], v[1:2], off offset:1584
	global_load_b64 v[17:18], v[1:2], off offset:1848
	global_load_b64 v[19:20], v[1:2], off offset:2112
	global_load_b64 v[1:2], v[1:2], off offset:2376
	s_wait_loadcnt 0x8
	ds_store_2addr_b64 v21, v[3:4], v[5:6] offset1:33
	s_wait_loadcnt 0x6
	ds_store_2addr_b64 v21, v[7:8], v[9:10] offset0:66 offset1:99
	s_wait_loadcnt 0x4
	ds_store_2addr_b64 v21, v[11:12], v[13:14] offset0:132 offset1:165
	;; [unrolled: 2-line block ×4, first 2 shown]
.LBB0_10:
	s_wait_alu 0xfffe
	s_or_b32 exec_lo, exec_lo, s1
	v_add_nc_u32_e32 v32, 0, v0
	global_wb scope:SCOPE_SE
	s_wait_dscnt 0x0
	s_barrier_signal -1
	s_barrier_wait -1
	global_inv scope:SCOPE_SE
	v_add_nc_u32_e32 v30, v32, v28
	v_add3_u32 v29, 0, v28, v0
	s_mov_b32 s1, exec_lo
	ds_load_2addr_b64 v[16:19], v30 offset0:90 offset1:120
	ds_load_2addr_b64 v[8:11], v30 offset0:210 offset1:240
	s_wait_dscnt 0x0
	v_sub_f32_e32 v45, v17, v11
	v_dual_sub_f32 v56, v18, v8 :: v_dual_add_nc_u32 v1, 0x800, v30
	ds_load_2addr_b64 v[12:15], v30 offset0:150 offset1:180
	ds_load_2addr_b64 v[20:23], v30 offset0:30 offset1:60
	;; [unrolled: 1-line block ×3, first 2 shown]
	ds_load_b64 v[0:1], v29
	v_sub_f32_e32 v51, v16, v10
	v_add_f32_e32 v35, v11, v17
	v_add_f32_e32 v37, v9, v19
	v_dual_add_f32 v27, v10, v16 :: v_dual_sub_f32 v46, v19, v9
	v_add_f32_e32 v33, v8, v18
	global_wb scope:SCOPE_SE
	s_wait_dscnt 0x0
	s_barrier_signal -1
	s_barrier_wait -1
	global_inv scope:SCOPE_SE
	v_add_f32_e32 v36, v15, v13
	v_add_f32_e32 v34, v14, v12
	v_dual_add_f32 v39, v6, v20 :: v_dual_sub_f32 v58, v21, v7
	v_dual_sub_f32 v59, v23, v5 :: v_dual_mul_f32 v50, 0xbf7d64f0, v51
	v_dual_sub_f32 v60, v20, v6 :: v_dual_add_f32 v41, v7, v21
	v_add_f32_e32 v38, v4, v22
	s_delay_alu instid0(VALU_DEP_4) | instskip(NEXT) | instid1(VALU_DEP_4)
	v_mul_f32_e32 v47, 0xbf0a6770, v58
	v_fma_f32 v64, 0xbe11bafb, v35, -v50
	v_dual_add_f32 v40, v5, v23 :: v_dual_sub_f32 v61, v22, v4
	v_dual_sub_f32 v53, v12, v14 :: v_dual_sub_f32 v54, v13, v15
	s_delay_alu instid0(VALU_DEP_4) | instskip(SKIP_1) | instid1(VALU_DEP_3)
	v_fmamk_f32 v2, v39, 0x3f575c64, v47
	v_mul_f32_e32 v55, 0xbf0a6770, v60
	v_mul_f32_e32 v43, 0xbe903f40, v54
	s_delay_alu instid0(VALU_DEP_3) | instskip(NEXT) | instid1(VALU_DEP_3)
	v_dual_add_f32 v2, v0, v2 :: v_dual_mul_f32 v49, 0xbf68dda4, v59
	v_fma_f32 v3, 0x3f575c64, v41, -v55
	v_mul_f32_e32 v44, 0xbf7d64f0, v45
	s_delay_alu instid0(VALU_DEP_2) | instskip(NEXT) | instid1(VALU_DEP_1)
	v_dual_fmamk_f32 v52, v38, 0x3ed4b147, v49 :: v_dual_add_f32 v3, v1, v3
	v_dual_fmamk_f32 v63, v27, 0xbe11bafb, v44 :: v_dual_add_f32 v2, v52, v2
	v_mul_f32_e32 v57, 0xbf68dda4, v61
	v_mul_f32_e32 v52, 0xbe903f40, v53
	s_delay_alu instid0(VALU_DEP_3) | instskip(NEXT) | instid1(VALU_DEP_3)
	v_add_f32_e32 v2, v63, v2
	v_fma_f32 v62, 0x3ed4b147, v40, -v57
	v_mul_f32_e32 v42, 0xbf4178ce, v46
	v_fmamk_f32 v63, v34, 0xbf75a155, v43
	s_delay_alu instid0(VALU_DEP_2) | instskip(NEXT) | instid1(VALU_DEP_1)
	v_dual_add_f32 v3, v62, v3 :: v_dual_fmamk_f32 v62, v33, 0xbf27a4f4, v42
	v_dual_add_f32 v3, v64, v3 :: v_dual_mul_f32 v48, 0xbf4178ce, v56
	v_fma_f32 v64, 0xbf75a155, v36, -v52
	s_delay_alu instid0(VALU_DEP_3) | instskip(NEXT) | instid1(VALU_DEP_3)
	v_add_f32_e32 v2, v62, v2
	v_fma_f32 v65, 0xbf27a4f4, v37, -v48
	s_delay_alu instid0(VALU_DEP_1) | instskip(NEXT) | instid1(VALU_DEP_1)
	v_dual_add_f32 v2, v63, v2 :: v_dual_add_f32 v3, v65, v3
	v_add_f32_e32 v3, v64, v3
	v_cmpx_gt_u32_e32 30, v26
	s_cbranch_execz .LBB0_12
; %bb.11:
	v_dual_mul_f32 v78, 0x3f7d64f0, v61 :: v_dual_mul_f32 v81, 0x3f7d64f0, v59
	v_mul_f32_e32 v66, 0xbe903f40, v60
	v_mul_f32_e32 v92, 0x3f68dda4, v51
	v_dual_mul_f32 v67, 0x3f0a6770, v61 :: v_dual_mul_f32 v72, 0x3f0a6770, v59
	s_delay_alu instid0(VALU_DEP_4) | instskip(SKIP_4) | instid1(VALU_DEP_4)
	v_fma_f32 v83, 0xbe11bafb, v38, -v81
	v_mul_f32_e32 v85, 0x3f68dda4, v53
	v_fmamk_f32 v62, v41, 0xbf75a155, v66
	v_dual_mul_f32 v68, 0xbf4178ce, v51 :: v_dual_mul_f32 v73, 0xbf4178ce, v45
	v_mul_f32_e32 v69, 0x3f68dda4, v56
	v_fmamk_f32 v88, v36, 0x3ed4b147, v85
	v_mul_f32_e32 v70, 0xbe903f40, v58
	v_add_f32_e32 v62, v1, v62
	v_fma_f32 v74, 0x3f575c64, v38, -v72
	v_fma_f32 v76, 0xbf27a4f4, v27, -v73
	v_dual_mul_f32 v82, 0xbe903f40, v56 :: v_dual_add_f32 v21, v1, v21
	v_fma_f32 v64, 0xbf75a155, v39, -v70
	v_mul_f32_e32 v71, 0xbf7d64f0, v53
	v_mul_f32_e32 v84, 0xbf0a6770, v45
	s_delay_alu instid0(VALU_DEP_4) | instskip(NEXT) | instid1(VALU_DEP_4)
	v_dual_mul_f32 v86, 0xbe903f40, v46 :: v_dual_add_f32 v21, v21, v23
	v_add_f32_e32 v64, v0, v64
	v_fmamk_f32 v63, v40, 0x3f575c64, v67
	v_mul_f32_e32 v79, 0xbf4178ce, v58
	s_delay_alu instid0(VALU_DEP_4) | instskip(NEXT) | instid1(VALU_DEP_4)
	v_dual_mul_f32 v90, 0xbf7d64f0, v60 :: v_dual_add_f32 v17, v21, v17
	v_dual_add_f32 v64, v74, v64 :: v_dual_fmamk_f32 v65, v35, 0xbf27a4f4, v68
	s_delay_alu instid0(VALU_DEP_4) | instskip(SKIP_1) | instid1(VALU_DEP_3)
	v_dual_add_f32 v62, v63, v62 :: v_dual_fmamk_f32 v63, v37, 0x3ed4b147, v69
	v_mul_f32_e32 v74, 0xbf4178ce, v60
	v_dual_add_f32 v64, v76, v64 :: v_dual_mul_f32 v75, 0x3f68dda4, v46
	s_delay_alu instid0(VALU_DEP_3) | instskip(NEXT) | instid1(VALU_DEP_3)
	v_dual_add_f32 v62, v65, v62 :: v_dual_fmamk_f32 v65, v36, 0xbe11bafb, v71
	v_fmamk_f32 v76, v41, 0xbf27a4f4, v74
	v_fma_f32 v80, 0xbf27a4f4, v39, -v79
	s_delay_alu instid0(VALU_DEP_4) | instskip(NEXT) | instid1(VALU_DEP_4)
	v_fma_f32 v77, 0x3ed4b147, v33, -v75
	v_add_f32_e32 v62, v63, v62
	v_add_f32_e32 v20, v0, v20
	v_mul_f32_e32 v60, 0xbf68dda4, v60
	v_add_f32_e32 v80, v0, v80
	v_add_f32_e32 v64, v77, v64
	;; [unrolled: 1-line block ×3, first 2 shown]
	v_dual_add_f32 v62, v1, v76 :: v_dual_mul_f32 v77, 0xbf7d64f0, v54
	v_fmamk_f32 v65, v40, 0xbe11bafb, v78
	v_mul_f32_e32 v76, 0xbf0a6770, v51
	v_add_f32_e32 v20, v20, v22
	v_fmac_f32_e32 v81, 0xbe11bafb, v38
	v_fma_f32 v87, 0xbe11bafb, v34, -v77
	s_delay_alu instid0(VALU_DEP_4) | instskip(SKIP_3) | instid1(VALU_DEP_4)
	v_dual_add_f32 v62, v65, v62 :: v_dual_fmamk_f32 v65, v35, 0x3f575c64, v76
	v_mul_f32_e32 v89, 0x3f68dda4, v54
	v_mul_f32_e32 v91, 0x3e903f40, v59
	;; [unrolled: 1-line block ×3, first 2 shown]
	v_dual_mul_f32 v51, 0x3e903f40, v51 :: v_dual_add_f32 v62, v65, v62
	v_dual_fmamk_f32 v65, v37, 0xbf75a155, v82 :: v_dual_add_f32 v80, v83, v80
	v_fma_f32 v83, 0x3f575c64, v27, -v84
	v_fmac_f32_e32 v72, 0x3f575c64, v38
	s_delay_alu instid0(VALU_DEP_3) | instskip(NEXT) | instid1(VALU_DEP_3)
	v_dual_add_f32 v65, v65, v62 :: v_dual_add_f32 v62, v87, v64
	v_add_f32_e32 v80, v83, v80
	v_fma_f32 v83, 0xbf75a155, v33, -v86
	v_mul_f32_e32 v87, 0x3e903f40, v61
	v_mul_f32_e32 v61, 0xbf4178ce, v61
	v_fmac_f32_e32 v86, 0xbf75a155, v33
	s_delay_alu instid0(VALU_DEP_4) | instskip(NEXT) | instid1(VALU_DEP_4)
	v_dual_add_f32 v64, v83, v80 :: v_dual_fmamk_f32 v83, v41, 0xbe11bafb, v90
	v_fmamk_f32 v22, v40, 0xbf75a155, v87
	v_fma_f32 v80, 0x3ed4b147, v34, -v89
	v_fmac_f32_e32 v89, 0x3ed4b147, v34
	s_delay_alu instid0(VALU_DEP_4) | instskip(SKIP_1) | instid1(VALU_DEP_4)
	v_add_f32_e32 v83, v1, v83
	v_fmac_f32_e32 v84, 0x3f575c64, v27
	v_add_f32_e32 v64, v80, v64
	v_fma_f32 v80, 0xbf75a155, v38, -v91
	s_delay_alu instid0(VALU_DEP_4) | instskip(SKIP_4) | instid1(VALU_DEP_3)
	v_dual_fmac_f32 v91, 0xbf75a155, v38 :: v_dual_add_f32 v22, v22, v83
	v_fmamk_f32 v83, v35, 0x3ed4b147, v92
	v_dual_add_f32 v65, v88, v65 :: v_dual_mul_f32 v88, 0xbf7d64f0, v58
	v_mul_f32_e32 v58, 0xbf68dda4, v58
	v_fmac_f32_e32 v70, 0xbf75a155, v39
	v_fma_f32 v23, 0xbe11bafb, v39, -v88
	s_delay_alu instid0(VALU_DEP_1) | instskip(NEXT) | instid1(VALU_DEP_1)
	v_add_f32_e32 v23, v0, v23
	v_add_f32_e32 v21, v80, v23
	v_mul_f32_e32 v23, 0xbf0a6770, v56
	v_add_f32_e32 v16, v20, v16
	v_mul_f32_e32 v20, 0x3f68dda4, v45
	v_dual_add_f32 v80, v17, v19 :: v_dual_add_f32 v17, v83, v22
	s_delay_alu instid0(VALU_DEP_3) | instskip(NEXT) | instid1(VALU_DEP_3)
	v_dual_mul_f32 v22, 0xbf4178ce, v53 :: v_dual_add_f32 v93, v16, v18
	v_fma_f32 v16, 0x3ed4b147, v27, -v20
	v_fmamk_f32 v18, v37, 0x3f575c64, v23
	v_fma_f32 v83, 0xbf27a4f4, v38, -v59
	v_mul_f32_e32 v94, 0xbf0a6770, v46
	v_mul_f32_e32 v56, 0x3f7d64f0, v56
	v_dual_add_f32 v16, v16, v21 :: v_dual_mul_f32 v21, 0xbf4178ce, v54
	v_add_f32_e32 v17, v18, v17
	s_delay_alu instid0(VALU_DEP_4)
	v_fma_f32 v19, 0x3f575c64, v33, -v94
	v_fmamk_f32 v18, v36, 0xbf27a4f4, v22
	v_mul_f32_e32 v53, 0x3f0a6770, v53
	v_mul_f32_e32 v45, 0x3e903f40, v45
	;; [unrolled: 1-line block ×3, first 2 shown]
	v_add_f32_e32 v16, v19, v16
	v_fma_f32 v19, 0xbf27a4f4, v34, -v21
	v_dual_add_f32 v17, v18, v17 :: v_dual_fmamk_f32 v18, v41, 0x3ed4b147, v60
	v_mul_f32_e32 v54, 0x3f0a6770, v54
	v_fmac_f32_e32 v88, 0xbe11bafb, v39
	s_delay_alu instid0(VALU_DEP_4) | instskip(NEXT) | instid1(VALU_DEP_4)
	v_dual_add_f32 v16, v19, v16 :: v_dual_fmamk_f32 v19, v40, 0xbf27a4f4, v61
	v_add_f32_e32 v18, v1, v18
	v_fmac_f32_e32 v59, 0xbf27a4f4, v38
	v_fmac_f32_e32 v21, 0xbf27a4f4, v34
	s_delay_alu instid0(VALU_DEP_3) | instskip(SKIP_1) | instid1(VALU_DEP_1)
	v_add_f32_e32 v18, v19, v18
	v_fmamk_f32 v19, v35, 0xbf75a155, v51
	v_dual_add_f32 v18, v19, v18 :: v_dual_fmamk_f32 v19, v37, 0xbe11bafb, v56
	s_delay_alu instid0(VALU_DEP_1) | instskip(SKIP_1) | instid1(VALU_DEP_1)
	v_add_f32_e32 v18, v19, v18
	v_fma_f32 v19, 0x3ed4b147, v39, -v58
	v_add_f32_e32 v19, v0, v19
	v_dual_fmac_f32 v75, 0x3ed4b147, v33 :: v_dual_fmac_f32 v20, 0x3ed4b147, v27
	v_fmac_f32_e32 v79, 0xbf27a4f4, v39
	s_delay_alu instid0(VALU_DEP_3) | instskip(SKIP_3) | instid1(VALU_DEP_3)
	v_add_f32_e32 v19, v83, v19
	v_fma_f32 v83, 0xbf75a155, v27, -v45
	v_fmac_f32_e32 v45, 0xbf75a155, v27
	v_fmac_f32_e32 v77, 0xbe11bafb, v34
	v_dual_fmac_f32 v94, 0x3f575c64, v33 :: v_dual_add_f32 v19, v83, v19
	v_fma_f32 v83, 0xbe11bafb, v33, -v46
	s_delay_alu instid0(VALU_DEP_1) | instskip(SKIP_1) | instid1(VALU_DEP_1)
	v_add_f32_e32 v83, v83, v19
	v_fmamk_f32 v19, v36, 0x3f575c64, v53
	v_add_f32_e32 v19, v19, v18
	v_fma_f32 v18, 0x3f575c64, v34, -v54
	s_delay_alu instid0(VALU_DEP_1) | instskip(NEXT) | instid1(VALU_DEP_1)
	v_dual_add_f32 v18, v18, v83 :: v_dual_mul_f32 v83, 0x3f575c64, v41
	v_add_f32_e32 v55, v55, v83
	v_mul_f32_e32 v83, 0x3ed4b147, v40
	s_delay_alu instid0(VALU_DEP_2) | instskip(NEXT) | instid1(VALU_DEP_2)
	v_add_f32_e32 v55, v1, v55
	v_add_f32_e32 v57, v57, v83
	v_fmac_f32_e32 v58, 0x3ed4b147, v39
	v_fmac_f32_e32 v73, 0xbf27a4f4, v27
	s_delay_alu instid0(VALU_DEP_3) | instskip(SKIP_1) | instid1(VALU_DEP_1)
	v_add_f32_e32 v55, v57, v55
	v_dual_mul_f32 v57, 0xbe11bafb, v35 :: v_dual_fmac_f32 v46, 0xbe11bafb, v33
	v_dual_add_f32 v50, v50, v57 :: v_dual_mul_f32 v57, 0x3f575c64, v39
	s_delay_alu instid0(VALU_DEP_1) | instskip(NEXT) | instid1(VALU_DEP_2)
	v_add_f32_e32 v50, v50, v55
	v_sub_f32_e32 v47, v57, v47
	v_mul_f32_e32 v57, 0x3ed4b147, v38
	s_delay_alu instid0(VALU_DEP_1) | instskip(SKIP_1) | instid1(VALU_DEP_1)
	v_dual_fmac_f32 v54, 0x3f575c64, v34 :: v_dual_sub_f32 v49, v57, v49
	v_mul_f32_e32 v57, 0xbf27a4f4, v37
	v_dual_mul_f32 v55, 0xbe11bafb, v27 :: v_dual_add_f32 v48, v48, v57
	s_delay_alu instid0(VALU_DEP_1) | instskip(SKIP_1) | instid1(VALU_DEP_3)
	v_dual_sub_f32 v44, v55, v44 :: v_dual_mul_f32 v57, 0xbf27a4f4, v33
	v_add_f32_e32 v47, v0, v47
	v_add_f32_e32 v48, v48, v50
	s_delay_alu instid0(VALU_DEP_3) | instskip(NEXT) | instid1(VALU_DEP_1)
	v_dual_add_f32 v13, v80, v13 :: v_dual_sub_f32 v42, v57, v42
	v_add_f32_e32 v13, v13, v15
	v_add_f32_e32 v15, v93, v12
	s_delay_alu instid0(VALU_DEP_2) | instskip(NEXT) | instid1(VALU_DEP_2)
	v_add_f32_e32 v9, v13, v9
	v_add_f32_e32 v13, v15, v14
	v_mul_f32_e32 v55, 0xbf75a155, v34
	v_fma_f32 v14, 0xbf75a155, v41, -v66
	s_delay_alu instid0(VALU_DEP_3) | instskip(SKIP_2) | instid1(VALU_DEP_4)
	v_add_f32_e32 v8, v13, v8
	v_add_f32_e32 v47, v49, v47
	v_mul_f32_e32 v49, 0xbf75a155, v36
	v_add_f32_e32 v13, v1, v14
	v_fma_f32 v14, 0x3f575c64, v40, -v67
	v_add_f32_e32 v8, v8, v10
	v_add_f32_e32 v44, v44, v47
	v_fma_f32 v10, 0xbf27a4f4, v35, -v68
	s_delay_alu instid0(VALU_DEP_3) | instskip(SKIP_1) | instid1(VALU_DEP_2)
	v_dual_add_f32 v4, v8, v4 :: v_dual_add_f32 v9, v9, v11
	v_fma_f32 v8, 0x3ed4b147, v37, -v69
	v_add_f32_e32 v4, v4, v6
	v_fma_f32 v6, 0xbf27a4f4, v41, -v74
	v_dual_add_f32 v15, v42, v44 :: v_dual_sub_f32 v42, v55, v43
	v_add_f32_e32 v49, v52, v49
	v_add_f32_e32 v5, v9, v5
	;; [unrolled: 1-line block ×3, first 2 shown]
	v_fma_f32 v14, 0xbf75a155, v40, -v87
	v_add_f32_e32 v13, v0, v70
	v_add_f32_e32 v6, v1, v6
	;; [unrolled: 1-line block ×4, first 2 shown]
	v_fma_f32 v10, 0xbe11bafb, v40, -v78
	v_add_f32_e32 v9, v72, v13
	v_dual_add_f32 v13, v0, v79 :: v_dual_add_f32 v12, v49, v48
	s_delay_alu instid0(VALU_DEP_4) | instskip(SKIP_1) | instid1(VALU_DEP_4)
	v_add_f32_e32 v7, v8, v7
	v_fma_f32 v8, 0xbe11bafb, v36, -v71
	v_add_f32_e32 v9, v73, v9
	s_delay_alu instid0(VALU_DEP_4) | instskip(NEXT) | instid1(VALU_DEP_2)
	v_add_f32_e32 v13, v81, v13
	v_dual_add_f32 v7, v8, v7 :: v_dual_add_f32 v8, v75, v9
	v_add_f32_e32 v9, v10, v6
	v_fma_f32 v10, 0x3f575c64, v35, -v76
	s_delay_alu instid0(VALU_DEP_3) | instskip(SKIP_1) | instid1(VALU_DEP_3)
	v_dual_add_f32 v13, v84, v13 :: v_dual_add_f32 v6, v77, v8
	v_fma_f32 v8, 0xbe11bafb, v41, -v90
	v_add_f32_e32 v9, v10, v9
	v_fma_f32 v10, 0xbf75a155, v37, -v82
	v_add_f32_e32 v11, v42, v15
	v_add_f32_e32 v15, v0, v88
	;; [unrolled: 1-line block ×3, first 2 shown]
	s_delay_alu instid0(VALU_DEP_4) | instskip(SKIP_1) | instid1(VALU_DEP_3)
	v_dual_add_f32 v0, v0, v58 :: v_dual_add_f32 v9, v10, v9
	v_fma_f32 v10, 0x3ed4b147, v36, -v85
	v_add_f32_e32 v8, v14, v8
	v_fma_f32 v14, 0x3ed4b147, v35, -v92
	s_delay_alu instid0(VALU_DEP_3) | instskip(SKIP_1) | instid1(VALU_DEP_3)
	v_dual_add_f32 v0, v59, v0 :: v_dual_add_f32 v9, v10, v9
	v_add_f32_e32 v10, v86, v13
	v_add_f32_e32 v13, v14, v8
	v_fma_f32 v14, 0x3f575c64, v37, -v23
	s_delay_alu instid0(VALU_DEP_4) | instskip(NEXT) | instid1(VALU_DEP_4)
	v_add_f32_e32 v0, v45, v0
	v_add_f32_e32 v8, v89, v10
	v_fma_f32 v10, 0x3ed4b147, v41, -v60
	s_delay_alu instid0(VALU_DEP_4) | instskip(SKIP_1) | instid1(VALU_DEP_3)
	v_dual_add_f32 v13, v14, v13 :: v_dual_add_f32 v14, v91, v15
	v_fma_f32 v15, 0xbf27a4f4, v36, -v22
	v_add_f32_e32 v1, v1, v10
	v_fma_f32 v10, 0xbf27a4f4, v40, -v61
	v_fma_f32 v22, 0x3f575c64, v36, -v53
	v_add_f32_e32 v14, v20, v14
	v_mul_u32_u24_e32 v20, 0x50, v26
	v_add_f32_e32 v23, v46, v0
	v_add_f32_e32 v1, v10, v1
	v_fma_f32 v10, 0xbf75a155, v35, -v51
	v_add_f32_e32 v14, v94, v14
	v_add3_u32 v20, v32, v20, v28
	s_delay_alu instid0(VALU_DEP_2) | instskip(SKIP_1) | instid1(VALU_DEP_1)
	v_dual_add_f32 v1, v10, v1 :: v_dual_add_f32 v0, v21, v14
	v_fma_f32 v10, 0xbe11bafb, v37, -v56
	v_add_f32_e32 v10, v10, v1
	v_add_f32_e32 v1, v15, v13
	;; [unrolled: 1-line block ×3, first 2 shown]
	s_delay_alu instid0(VALU_DEP_3)
	v_add_f32_e32 v14, v22, v10
	ds_store_2addr_b64 v20, v[4:5], v[11:12] offset1:1
	ds_store_2addr_b64 v20, v[18:19], v[16:17] offset0:2 offset1:3
	ds_store_2addr_b64 v20, v[64:65], v[62:63] offset0:4 offset1:5
	;; [unrolled: 1-line block ×4, first 2 shown]
	ds_store_b64 v20, v[2:3] offset:80
.LBB0_12:
	s_wait_alu 0xfffe
	s_or_b32 exec_lo, exec_lo, s1
	v_and_b32_e32 v0, 0xff, v26
	global_wb scope:SCOPE_SE
	s_wait_dscnt 0x0
	s_barrier_signal -1
	s_barrier_wait -1
	global_inv scope:SCOPE_SE
	v_mul_lo_u16 v0, 0x75, v0
	v_cmp_gt_u32_e64 s0, 11, v26
	s_delay_alu instid0(VALU_DEP_2) | instskip(NEXT) | instid1(VALU_DEP_1)
	v_lshrrev_b16 v0, 8, v0
	v_sub_nc_u16 v1, v26, v0
	s_delay_alu instid0(VALU_DEP_1) | instskip(NEXT) | instid1(VALU_DEP_1)
	v_lshrrev_b16 v1, 1, v1
	v_and_b32_e32 v1, 0x7f, v1
	s_delay_alu instid0(VALU_DEP_1) | instskip(NEXT) | instid1(VALU_DEP_1)
	v_add_nc_u16 v0, v1, v0
	v_lshrrev_b16 v27, 3, v0
	s_delay_alu instid0(VALU_DEP_1) | instskip(NEXT) | instid1(VALU_DEP_1)
	v_mul_lo_u16 v0, v27, 11
	v_sub_nc_u16 v0, v26, v0
	s_delay_alu instid0(VALU_DEP_1) | instskip(NEXT) | instid1(VALU_DEP_1)
	v_and_b32_e32 v41, 0xff, v0
	v_mul_u32_u24_e32 v0, 9, v41
	s_delay_alu instid0(VALU_DEP_1)
	v_lshlrev_b32_e32 v0, 3, v0
	s_clause 0x4
	global_load_b128 v[4:7], v0, s[4:5]
	global_load_b128 v[8:11], v0, s[4:5] offset:16
	global_load_b128 v[12:15], v0, s[4:5] offset:32
	;; [unrolled: 1-line block ×3, first 2 shown]
	global_load_b64 v[0:1], v0, s[4:5] offset:64
	ds_load_2addr_b64 v[20:23], v30 offset0:33 offset1:66
	ds_load_2addr_b64 v[33:36], v30 offset0:99 offset1:132
	;; [unrolled: 1-line block ×3, first 2 shown]
	v_add_nc_u32_e32 v49, 0x400, v30
	v_and_b32_e32 v27, 0xffff, v27
	s_wait_loadcnt_dscnt 0x301
	v_dual_mul_f32 v51, v9, v34 :: v_dual_lshlrev_b32 v50, 3, v41
	s_wait_loadcnt_dscnt 0x200
	v_mul_f32_e32 v54, v40, v15
	ds_load_2addr_b64 v[41:44], v49 offset0:103 offset1:136
	ds_load_b64 v[45:46], v29
	ds_load_b64 v[47:48], v30 offset:2376
	v_mul_f32_e32 v52, v11, v36
	v_mad_u32_u24 v27, 0x370, v27, 0
	v_mul_f32_e32 v9, v9, v33
	global_wb scope:SCOPE_SE
	s_wait_loadcnt_dscnt 0x0
	s_barrier_signal -1
	s_barrier_wait -1
	v_add3_u32 v27, v27, v50, v28
	v_mul_f32_e32 v28, v5, v21
	v_dual_mul_f32 v50, v5, v20 :: v_dual_mul_f32 v5, v7, v23
	v_mul_f32_e32 v11, v11, v35
	v_mul_f32_e32 v7, v7, v22
	s_delay_alu instid0(VALU_DEP_4) | instskip(NEXT) | instid1(VALU_DEP_4)
	v_fma_f32 v20, v4, v20, -v28
	v_fmac_f32_e32 v50, v4, v21
	v_fma_f32 v4, v6, v22, -v5
	v_mul_f32_e32 v15, v39, v15
	v_fma_f32 v5, v8, v33, -v51
	v_mul_f32_e32 v56, v44, v19
	global_inv scope:SCOPE_SE
	v_fmac_f32_e32 v15, v40, v14
	v_fmac_f32_e32 v11, v10, v36
	v_mul_f32_e32 v53, v13, v38
	s_delay_alu instid0(VALU_DEP_2) | instskip(NEXT) | instid1(VALU_DEP_2)
	v_dual_fmac_f32 v9, v8, v34 :: v_dual_sub_f32 v22, v11, v15
	v_fma_f32 v8, v12, v37, -v53
	v_fmac_f32_e32 v7, v6, v23
	v_fma_f32 v6, v10, v35, -v52
	v_mul_f32_e32 v19, v43, v19
	v_fma_f32 v10, v39, v14, -v54
	v_fma_f32 v14, v43, v18, -v56
	v_mul_f32_e32 v55, v42, v17
	v_mul_f32_e32 v17, v41, v17
	v_dual_mul_f32 v13, v13, v37 :: v_dual_sub_f32 v34, v6, v4
	s_delay_alu instid0(VALU_DEP_4) | instskip(NEXT) | instid1(VALU_DEP_3)
	v_sub_f32_e32 v28, v14, v10
	v_dual_sub_f32 v54, v8, v5 :: v_dual_fmac_f32 v17, v42, v16
	v_fmac_f32_e32 v19, v44, v18
	v_add_f32_e32 v18, v6, v10
	s_delay_alu instid0(VALU_DEP_2)
	v_dual_sub_f32 v40, v19, v15 :: v_dual_fmac_f32 v13, v12, v38
	v_add_f32_e32 v56, v50, v9
	v_fma_f32 v12, v41, v16, -v55
	v_sub_f32_e32 v35, v10, v14
	v_sub_f32_e32 v38, v6, v10
	v_fma_f32 v63, -0.5, v18, v45
	s_delay_alu instid0(VALU_DEP_4) | instskip(SKIP_3) | instid1(VALU_DEP_3)
	v_sub_f32_e32 v58, v8, v12
	v_add_f32_e32 v44, v8, v12
	v_dual_mul_f32 v57, v48, v1 :: v_dual_add_f32 v36, v46, v7
	v_dual_mul_f32 v1, v47, v1 :: v_dual_add_f32 v18, v34, v35
	v_fma_f32 v34, -0.5, v44, v20
	s_delay_alu instid0(VALU_DEP_3) | instskip(NEXT) | instid1(VALU_DEP_3)
	v_fma_f32 v16, v47, v0, -v57
	v_dual_fmac_f32 v1, v48, v0 :: v_dual_sub_f32 v48, v13, v17
	v_add_f32_e32 v0, v45, v4
	s_delay_alu instid0(VALU_DEP_3) | instskip(NEXT) | instid1(VALU_DEP_3)
	v_add_f32_e32 v53, v5, v16
	v_dual_sub_f32 v23, v4, v6 :: v_dual_sub_f32 v62, v17, v1
	v_add_f32_e32 v33, v4, v14
	v_sub_f32_e32 v52, v16, v12
	v_dual_sub_f32 v60, v1, v17 :: v_dual_sub_f32 v21, v7, v19
	v_add_f32_e32 v41, v7, v19
	v_sub_f32_e32 v42, v15, v19
	v_dual_add_f32 v37, v11, v15 :: v_dual_add_f32 v0, v0, v6
	v_sub_f32_e32 v55, v12, v16
	v_add_f32_e32 v43, v20, v5
	v_dual_fmac_f32 v20, -0.5, v53 :: v_dual_sub_f32 v39, v7, v11
	v_dual_sub_f32 v4, v4, v14 :: v_dual_sub_f32 v51, v5, v8
	v_dual_add_f32 v0, v0, v10 :: v_dual_add_f32 v61, v9, v1
	v_sub_f32_e32 v7, v11, v7
	v_add_f32_e32 v6, v23, v28
	v_fma_f32 v23, -0.5, v33, v45
	v_add_f32_e32 v11, v36, v11
	v_fma_f32 v28, -0.5, v37, v46
	v_add_f32_e32 v57, v13, v17
	v_dual_fmac_f32 v46, -0.5, v41 :: v_dual_add_f32 v33, v39, v40
	v_fmamk_f32 v40, v21, 0x3f737871, v63
	v_dual_add_f32 v36, v54, v55 :: v_dual_sub_f32 v47, v9, v1
	v_dual_add_f32 v8, v43, v8 :: v_dual_sub_f32 v59, v9, v13
	v_sub_f32_e32 v9, v13, v9
	s_delay_alu instid0(VALU_DEP_4) | instskip(SKIP_1) | instid1(VALU_DEP_4)
	v_dual_add_f32 v13, v56, v13 :: v_dual_fmac_f32 v40, 0x3f167918, v22
	v_fma_f32 v37, -0.5, v57, v50
	v_add_f32_e32 v8, v8, v12
	v_fmac_f32_e32 v50, -0.5, v61
	v_dual_fmac_f32 v63, 0xbf737871, v21 :: v_dual_fmamk_f32 v12, v48, 0xbf737871, v20
	v_fmac_f32_e32 v20, 0x3f737871, v48
	s_delay_alu instid0(VALU_DEP_4)
	v_add_f32_e32 v8, v8, v16
	v_add_f32_e32 v10, v11, v15
	v_dual_add_f32 v7, v7, v42 :: v_dual_fmamk_f32 v42, v4, 0xbf737871, v28
	v_fmac_f32_e32 v28, 0x3f737871, v4
	v_dual_add_f32 v39, v59, v60 :: v_dual_add_f32 v0, v0, v14
	v_fmamk_f32 v41, v22, 0xbf737871, v23
	v_fmac_f32_e32 v23, 0x3f737871, v22
	v_fmamk_f32 v11, v47, 0x3f737871, v34
	v_dual_fmac_f32 v34, 0xbf737871, v47 :: v_dual_add_f32 v13, v13, v17
	v_fmac_f32_e32 v42, 0xbf167918, v38
	v_fmac_f32_e32 v63, 0xbf167918, v22
	v_sub_f32_e32 v5, v5, v16
	v_add_f32_e32 v35, v51, v52
	v_dual_fmac_f32 v11, 0x3f167918, v48 :: v_dual_fmac_f32 v12, 0x3f167918, v47
	v_fmac_f32_e32 v34, 0xbf167918, v48
	v_dual_fmac_f32 v20, 0xbf167918, v47 :: v_dual_add_f32 v1, v13, v1
	v_fmac_f32_e32 v40, 0x3e9e377a, v6
	v_fmamk_f32 v43, v38, 0x3f737871, v46
	v_fmac_f32_e32 v46, 0xbf737871, v38
	v_dual_fmac_f32 v63, 0x3e9e377a, v6 :: v_dual_fmac_f32 v42, 0x3e9e377a, v33
	v_fmamk_f32 v17, v58, 0x3f737871, v50
	v_fmac_f32_e32 v50, 0xbf737871, v58
	v_dual_sub_f32 v6, v0, v8 :: v_dual_fmac_f32 v23, 0xbf167918, v21
	v_dual_add_f32 v9, v9, v62 :: v_dual_fmac_f32 v46, 0x3f167918, v4
	v_dual_add_f32 v10, v10, v19 :: v_dual_fmac_f32 v43, 0xbf167918, v4
	s_delay_alu instid0(VALU_DEP_4) | instskip(SKIP_1) | instid1(VALU_DEP_4)
	v_fmac_f32_e32 v50, 0x3f167918, v5
	v_dual_fmac_f32 v11, 0x3e9e377a, v35 :: v_dual_fmac_f32 v20, 0x3e9e377a, v36
	v_dual_fmac_f32 v23, 0x3e9e377a, v18 :: v_dual_fmac_f32 v46, 0x3e9e377a, v7
	s_delay_alu instid0(VALU_DEP_4) | instskip(NEXT) | instid1(VALU_DEP_4)
	v_dual_fmac_f32 v43, 0x3e9e377a, v7 :: v_dual_fmac_f32 v12, 0x3e9e377a, v36
	v_fmac_f32_e32 v50, 0x3e9e377a, v9
	v_dual_add_f32 v4, v0, v8 :: v_dual_sub_f32 v7, v10, v1
	v_mul_f32_e32 v8, 0x3e9e377a, v20
	v_dual_fmac_f32 v41, 0x3f167918, v21 :: v_dual_fmac_f32 v28, 0x3f167918, v38
	v_mul_f32_e32 v21, 0xbf737871, v12
	v_mul_f32_e32 v19, 0xbf167918, v11
	s_delay_alu instid0(VALU_DEP_4)
	v_fma_f32 v22, 0x3f737871, v50, -v8
	v_fmamk_f32 v15, v5, 0xbf737871, v37
	v_fmac_f32_e32 v37, 0x3f737871, v5
	v_fmac_f32_e32 v17, 0xbf167918, v5
	v_dual_add_f32 v5, v10, v1 :: v_dual_mul_f32 v10, 0x3e9e377a, v50
	v_dual_fmac_f32 v34, 0x3e9e377a, v35 :: v_dual_fmac_f32 v41, 0x3e9e377a, v18
	v_fmac_f32_e32 v28, 0x3e9e377a, v33
	s_delay_alu instid0(VALU_DEP_3) | instskip(SKIP_1) | instid1(VALU_DEP_1)
	v_fma_f32 v35, 0xbf737871, v20, -v10
	v_dual_sub_f32 v20, v23, v22 :: v_dual_fmac_f32 v17, 0x3e9e377a, v9
	v_mul_f32_e32 v1, 0x3f737871, v17
	v_fmac_f32_e32 v21, 0x3e9e377a, v17
	s_delay_alu instid0(VALU_DEP_2) | instskip(NEXT) | instid1(VALU_DEP_1)
	v_dual_fmac_f32 v1, 0x3e9e377a, v12 :: v_dual_add_f32 v12, v23, v22
	v_dual_fmac_f32 v15, 0xbf167918, v58 :: v_dual_add_f32 v10, v41, v1
	s_delay_alu instid0(VALU_DEP_1) | instskip(NEXT) | instid1(VALU_DEP_1)
	v_dual_sub_f32 v18, v41, v1 :: v_dual_fmac_f32 v15, 0x3e9e377a, v39
	v_mul_f32_e32 v0, 0x3f167918, v15
	v_mul_f32_e32 v9, 0x3f4f1bbd, v34
	v_fmac_f32_e32 v19, 0x3f4f1bbd, v15
	s_delay_alu instid0(VALU_DEP_3) | instskip(NEXT) | instid1(VALU_DEP_1)
	v_dual_fmac_f32 v0, 0x3f4f1bbd, v11 :: v_dual_add_f32 v11, v43, v21
	v_dual_sub_f32 v17, v42, v19 :: v_dual_sub_f32 v16, v40, v0
	v_dual_fmac_f32 v37, 0x3f167918, v58 :: v_dual_add_f32 v8, v40, v0
	s_delay_alu instid0(VALU_DEP_1) | instskip(NEXT) | instid1(VALU_DEP_1)
	v_fmac_f32_e32 v37, 0x3e9e377a, v39
	v_mul_f32_e32 v13, 0x3f4f1bbd, v37
	v_fma_f32 v33, 0x3f167918, v37, -v9
	v_add_f32_e32 v9, v42, v19
	v_sub_f32_e32 v19, v43, v21
	v_sub_f32_e32 v21, v46, v35
	v_fma_f32 v34, 0xbf167918, v34, -v13
	v_dual_add_f32 v13, v46, v35 :: v_dual_add_f32 v14, v63, v33
	s_delay_alu instid0(VALU_DEP_2)
	v_dual_sub_f32 v0, v63, v33 :: v_dual_add_f32 v15, v28, v34
	v_sub_f32_e32 v1, v28, v34
	ds_store_2addr_b64 v27, v[4:5], v[8:9] offset1:11
	ds_store_2addr_b64 v27, v[10:11], v[12:13] offset0:22 offset1:33
	ds_store_2addr_b64 v27, v[14:15], v[6:7] offset0:44 offset1:55
	;; [unrolled: 1-line block ×4, first 2 shown]
	global_wb scope:SCOPE_SE
	s_wait_dscnt 0x0
	s_barrier_signal -1
	s_barrier_wait -1
	global_inv scope:SCOPE_SE
	ds_load_b64 v[22:23], v29
	ds_load_2addr_b64 v[12:15], v30 offset0:110 offset1:143
	ds_load_2addr_b64 v[8:11], v30 offset0:176 offset1:220
	;; [unrolled: 1-line block ×4, first 2 shown]
                                        ; implicit-def: $vgpr21
	s_and_saveexec_b32 s1, s0
	s_cbranch_execz .LBB0_14
; %bb.13:
	ds_load_2addr_b64 v[0:3], v30 offset0:99 offset1:209
	ds_load_b64 v[20:21], v30 offset:2552
.LBB0_14:
	s_wait_alu 0xfffe
	s_or_b32 exec_lo, exec_lo, s1
	v_dual_mov_b32 v28, 0 :: v_dual_lshlrev_b32 v27, 1, v26
	s_delay_alu instid0(VALU_DEP_1) | instskip(SKIP_1) | instid1(VALU_DEP_2)
	v_dual_mov_b32 v36, v28 :: v_dual_add_nc_u32 v35, 0x42, v27
	v_lshlrev_b64_e32 v[33:34], 3, v[27:28]
	v_lshlrev_b64_e32 v[37:38], 3, v[35:36]
	s_delay_alu instid0(VALU_DEP_2) | instskip(SKIP_1) | instid1(VALU_DEP_3)
	v_add_co_u32 v33, s1, s4, v33
	s_wait_alu 0xf1ff
	v_add_co_ci_u32_e64 v34, s1, s5, v34, s1
	s_delay_alu instid0(VALU_DEP_3) | instskip(SKIP_4) | instid1(VALU_DEP_1)
	v_add_co_u32 v37, s1, s4, v37
	s_wait_alu 0xf1ff
	v_add_co_ci_u32_e64 v38, s1, s5, v38, s1
	global_load_b128 v[33:36], v[33:34], off offset:792
	v_add_nc_u32_e32 v27, 0x84, v27
	v_lshlrev_b64_e32 v[39:40], 3, v[27:28]
	v_lshl_add_u32 v27, v31, 3, v32
	s_delay_alu instid0(VALU_DEP_2) | instskip(SKIP_1) | instid1(VALU_DEP_3)
	v_add_co_u32 v41, s1, s4, v39
	s_wait_alu 0xf1ff
	v_add_co_ci_u32_e64 v42, s1, s5, v40, s1
	s_clause 0x1
	global_load_b128 v[37:40], v[37:38], off offset:792
	global_load_b128 v[41:44], v[41:42], off offset:792
	v_add_nc_u32_e32 v31, 0x400, v27
	global_wb scope:SCOPE_SE
	s_wait_loadcnt_dscnt 0x0
	s_barrier_signal -1
	s_barrier_wait -1
	global_inv scope:SCOPE_SE
	v_mul_f32_e32 v32, v34, v13
	v_dual_mul_f32 v34, v34, v12 :: v_dual_mul_f32 v45, v36, v11
	v_mul_f32_e32 v36, v36, v10
	s_delay_alu instid0(VALU_DEP_3) | instskip(NEXT) | instid1(VALU_DEP_3)
	v_fma_f32 v12, v33, v12, -v32
	v_fmac_f32_e32 v34, v33, v13
	s_delay_alu instid0(VALU_DEP_4) | instskip(NEXT) | instid1(VALU_DEP_4)
	v_fma_f32 v10, v35, v10, -v45
	v_dual_fmac_f32 v36, v35, v11 :: v_dual_mul_f32 v13, v38, v14
	v_dual_mul_f32 v11, v38, v15 :: v_dual_mul_f32 v32, v40, v17
	v_mul_f32_e32 v35, v42, v9
	v_mul_f32_e32 v38, v42, v8
	;; [unrolled: 1-line block ×5, first 2 shown]
	v_fma_f32 v11, v37, v14, -v11
	v_fmac_f32_e32 v13, v37, v15
	v_fma_f32 v14, v39, v16, -v32
	v_fma_f32 v15, v41, v8, -v35
	v_fmac_f32_e32 v38, v41, v9
	v_fmac_f32_e32 v33, v39, v17
	v_sub_f32_e32 v17, v34, v36
	v_fma_f32 v16, v43, v18, -v40
	v_dual_fmac_f32 v42, v43, v19 :: v_dual_add_f32 v9, v12, v10
	v_dual_add_f32 v18, v23, v34 :: v_dual_add_f32 v19, v34, v36
	v_add_f32_e32 v8, v22, v12
	v_sub_f32_e32 v12, v12, v10
	s_delay_alu instid0(VALU_DEP_4) | instskip(NEXT) | instid1(VALU_DEP_4)
	v_fma_f32 v22, -0.5, v9, v22
	v_add_f32_e32 v9, v18, v36
	s_delay_alu instid0(VALU_DEP_4)
	v_dual_fmac_f32 v23, -0.5, v19 :: v_dual_add_f32 v8, v8, v10
	v_dual_add_f32 v35, v13, v33 :: v_dual_add_f32 v18, v4, v11
	v_dual_add_f32 v19, v11, v14 :: v_dual_add_f32 v34, v5, v13
	v_dual_add_f32 v39, v15, v16 :: v_dual_sub_f32 v40, v38, v42
	v_sub_f32_e32 v43, v15, v16
	v_dual_add_f32 v41, v7, v38 :: v_dual_fmamk_f32 v10, v17, 0x3f5db3d7, v22
	v_add_f32_e32 v38, v38, v42
	v_dual_sub_f32 v32, v13, v33 :: v_dual_add_f32 v37, v6, v15
	v_dual_sub_f32 v36, v11, v14 :: v_dual_fmamk_f32 v11, v12, 0xbf5db3d7, v23
	v_fmac_f32_e32 v23, 0x3f5db3d7, v12
	v_fma_f32 v4, -0.5, v19, v4
	v_fma_f32 v5, -0.5, v35, v5
	;; [unrolled: 1-line block ×3, first 2 shown]
	v_dual_fmac_f32 v7, -0.5, v38 :: v_dual_fmac_f32 v22, 0xbf5db3d7, v17
	v_add_f32_e32 v15, v41, v42
	s_delay_alu instid0(VALU_DEP_4)
	v_dual_add_f32 v12, v18, v14 :: v_dual_fmamk_f32 v17, v36, 0xbf5db3d7, v5
	v_dual_add_f32 v13, v34, v33 :: v_dual_add_f32 v14, v37, v16
	v_fmamk_f32 v16, v32, 0x3f5db3d7, v4
	v_dual_fmac_f32 v4, 0xbf5db3d7, v32 :: v_dual_fmamk_f32 v19, v43, 0xbf5db3d7, v7
	v_dual_fmac_f32 v5, 0x3f5db3d7, v36 :: v_dual_fmamk_f32 v18, v40, 0x3f5db3d7, v6
	v_fmac_f32_e32 v6, 0xbf5db3d7, v40
	v_fmac_f32_e32 v7, 0x3f5db3d7, v43
	ds_store_b64 v30, v[22:23] offset:1760
	ds_store_2addr_b64 v30, v[8:9], v[12:13] offset1:33
	ds_store_2addr_b64 v30, v[14:15], v[10:11] offset0:66 offset1:110
	ds_store_2addr_b64 v27, v[16:17], v[18:19] offset0:143 offset1:176
	;; [unrolled: 1-line block ×3, first 2 shown]
	s_and_saveexec_b32 s1, s0
	s_cbranch_execz .LBB0_16
; %bb.15:
	v_cndmask_b32_e64 v4, -11, 0x63, s0
	s_delay_alu instid0(VALU_DEP_1) | instskip(NEXT) | instid1(VALU_DEP_1)
	v_add_lshl_u32 v27, v26, v4, 1
	v_lshlrev_b64_e32 v[4:5], 3, v[27:28]
	s_delay_alu instid0(VALU_DEP_1) | instskip(SKIP_1) | instid1(VALU_DEP_2)
	v_add_co_u32 v4, s0, s4, v4
	s_wait_alu 0xf1ff
	v_add_co_ci_u32_e64 v5, s0, s5, v5, s0
	global_load_b128 v[4:7], v[4:5], off offset:792
	s_wait_loadcnt 0x0
	v_dual_mul_f32 v8, v3, v5 :: v_dual_mul_f32 v9, v20, v7
	v_mul_f32_e32 v5, v2, v5
	s_delay_alu instid0(VALU_DEP_2) | instskip(SKIP_1) | instid1(VALU_DEP_3)
	v_fma_f32 v2, v2, v4, -v8
	v_mul_f32_e32 v7, v21, v7
	v_fmac_f32_e32 v5, v3, v4
	s_delay_alu instid0(VALU_DEP_2) | instskip(NEXT) | instid1(VALU_DEP_1)
	v_fma_f32 v4, v20, v6, -v7
	v_dual_fmac_f32 v9, v21, v6 :: v_dual_sub_f32 v6, v2, v4
	v_dual_add_f32 v7, v2, v4 :: v_dual_add_f32 v2, v0, v2
	s_delay_alu instid0(VALU_DEP_1) | instskip(NEXT) | instid1(VALU_DEP_2)
	v_fma_f32 v0, -0.5, v7, v0
	v_add_f32_e32 v2, v2, v4
	s_delay_alu instid0(VALU_DEP_4) | instskip(NEXT) | instid1(VALU_DEP_1)
	v_sub_f32_e32 v10, v5, v9
	v_dual_fmamk_f32 v4, v10, 0xbf5db3d7, v0 :: v_dual_add_f32 v3, v5, v9
	v_fmac_f32_e32 v0, 0x3f5db3d7, v10
	v_add_f32_e32 v8, v1, v5
	s_delay_alu instid0(VALU_DEP_3) | instskip(NEXT) | instid1(VALU_DEP_2)
	v_fma_f32 v1, -0.5, v3, v1
	v_add_f32_e32 v3, v8, v9
	s_delay_alu instid0(VALU_DEP_2)
	v_fmamk_f32 v5, v6, 0x3f5db3d7, v1
	v_fmac_f32_e32 v1, 0xbf5db3d7, v6
	ds_store_2addr_b64 v30, v[2:3], v[0:1] offset0:99 offset1:209
	ds_store_b64 v30, v[4:5] offset:2552
.LBB0_16:
	s_wait_alu 0xfffe
	s_or_b32 exec_lo, exec_lo, s1
	global_wb scope:SCOPE_SE
	s_wait_dscnt 0x0
	s_barrier_signal -1
	s_barrier_wait -1
	global_inv scope:SCOPE_SE
	s_and_saveexec_b32 s0, vcc_lo
	s_cbranch_execz .LBB0_18
; %bb.17:
	v_dual_mov_b32 v27, 0 :: v_dual_add_nc_u32 v16, 0x800, v29
	ds_load_2addr_b64 v[0:3], v29 offset1:33
	ds_load_2addr_b64 v[4:7], v29 offset0:66 offset1:99
	ds_load_2addr_b64 v[8:11], v29 offset0:132 offset1:165
	;; [unrolled: 1-line block ×4, first 2 shown]
	v_lshlrev_b64_e32 v[20:21], 3, v[26:27]
	v_add_co_u32 v22, vcc_lo, s8, v24
	s_wait_alu 0xfffd
	v_add_co_ci_u32_e32 v23, vcc_lo, s9, v25, vcc_lo
	s_delay_alu instid0(VALU_DEP_2) | instskip(SKIP_1) | instid1(VALU_DEP_2)
	v_add_co_u32 v20, vcc_lo, v22, v20
	s_wait_alu 0xfffd
	v_add_co_ci_u32_e32 v21, vcc_lo, v23, v21, vcc_lo
	s_wait_dscnt 0x4
	s_clause 0x1
	global_store_b64 v[20:21], v[0:1], off
	global_store_b64 v[20:21], v[2:3], off offset:264
	s_wait_dscnt 0x3
	s_clause 0x1
	global_store_b64 v[20:21], v[4:5], off offset:528
	global_store_b64 v[20:21], v[6:7], off offset:792
	s_wait_dscnt 0x2
	s_clause 0x1
	global_store_b64 v[20:21], v[8:9], off offset:1056
	global_store_b64 v[20:21], v[10:11], off offset:1320
	s_wait_dscnt 0x1
	s_clause 0x1
	global_store_b64 v[20:21], v[12:13], off offset:1584
	global_store_b64 v[20:21], v[14:15], off offset:1848
	s_wait_dscnt 0x0
	s_clause 0x1
	global_store_b64 v[20:21], v[16:17], off offset:2112
	global_store_b64 v[20:21], v[18:19], off offset:2376
.LBB0_18:
	s_nop 0
	s_sendmsg sendmsg(MSG_DEALLOC_VGPRS)
	s_endpgm
	.section	.rodata,"a",@progbits
	.p2align	6, 0x0
	.amdhsa_kernel fft_rtc_fwd_len330_factors_11_10_3_wgs_99_tpt_33_sp_ip_CI_unitstride_sbrr_dirReg
		.amdhsa_group_segment_fixed_size 0
		.amdhsa_private_segment_fixed_size 0
		.amdhsa_kernarg_size 88
		.amdhsa_user_sgpr_count 2
		.amdhsa_user_sgpr_dispatch_ptr 0
		.amdhsa_user_sgpr_queue_ptr 0
		.amdhsa_user_sgpr_kernarg_segment_ptr 1
		.amdhsa_user_sgpr_dispatch_id 0
		.amdhsa_user_sgpr_private_segment_size 0
		.amdhsa_wavefront_size32 1
		.amdhsa_uses_dynamic_stack 0
		.amdhsa_enable_private_segment 0
		.amdhsa_system_sgpr_workgroup_id_x 1
		.amdhsa_system_sgpr_workgroup_id_y 0
		.amdhsa_system_sgpr_workgroup_id_z 0
		.amdhsa_system_sgpr_workgroup_info 0
		.amdhsa_system_vgpr_workitem_id 0
		.amdhsa_next_free_vgpr 95
		.amdhsa_next_free_sgpr 32
		.amdhsa_reserve_vcc 1
		.amdhsa_float_round_mode_32 0
		.amdhsa_float_round_mode_16_64 0
		.amdhsa_float_denorm_mode_32 3
		.amdhsa_float_denorm_mode_16_64 3
		.amdhsa_fp16_overflow 0
		.amdhsa_workgroup_processor_mode 1
		.amdhsa_memory_ordered 1
		.amdhsa_forward_progress 0
		.amdhsa_round_robin_scheduling 0
		.amdhsa_exception_fp_ieee_invalid_op 0
		.amdhsa_exception_fp_denorm_src 0
		.amdhsa_exception_fp_ieee_div_zero 0
		.amdhsa_exception_fp_ieee_overflow 0
		.amdhsa_exception_fp_ieee_underflow 0
		.amdhsa_exception_fp_ieee_inexact 0
		.amdhsa_exception_int_div_zero 0
	.end_amdhsa_kernel
	.text
.Lfunc_end0:
	.size	fft_rtc_fwd_len330_factors_11_10_3_wgs_99_tpt_33_sp_ip_CI_unitstride_sbrr_dirReg, .Lfunc_end0-fft_rtc_fwd_len330_factors_11_10_3_wgs_99_tpt_33_sp_ip_CI_unitstride_sbrr_dirReg
                                        ; -- End function
	.section	.AMDGPU.csdata,"",@progbits
; Kernel info:
; codeLenInByte = 6760
; NumSgprs: 34
; NumVgprs: 95
; ScratchSize: 0
; MemoryBound: 0
; FloatMode: 240
; IeeeMode: 1
; LDSByteSize: 0 bytes/workgroup (compile time only)
; SGPRBlocks: 4
; VGPRBlocks: 11
; NumSGPRsForWavesPerEU: 34
; NumVGPRsForWavesPerEU: 95
; Occupancy: 16
; WaveLimiterHint : 1
; COMPUTE_PGM_RSRC2:SCRATCH_EN: 0
; COMPUTE_PGM_RSRC2:USER_SGPR: 2
; COMPUTE_PGM_RSRC2:TRAP_HANDLER: 0
; COMPUTE_PGM_RSRC2:TGID_X_EN: 1
; COMPUTE_PGM_RSRC2:TGID_Y_EN: 0
; COMPUTE_PGM_RSRC2:TGID_Z_EN: 0
; COMPUTE_PGM_RSRC2:TIDIG_COMP_CNT: 0
	.text
	.p2alignl 7, 3214868480
	.fill 96, 4, 3214868480
	.type	__hip_cuid_a4ed7a5d4f5a060d,@object ; @__hip_cuid_a4ed7a5d4f5a060d
	.section	.bss,"aw",@nobits
	.globl	__hip_cuid_a4ed7a5d4f5a060d
__hip_cuid_a4ed7a5d4f5a060d:
	.byte	0                               ; 0x0
	.size	__hip_cuid_a4ed7a5d4f5a060d, 1

	.ident	"AMD clang version 19.0.0git (https://github.com/RadeonOpenCompute/llvm-project roc-6.4.0 25133 c7fe45cf4b819c5991fe208aaa96edf142730f1d)"
	.section	".note.GNU-stack","",@progbits
	.addrsig
	.addrsig_sym __hip_cuid_a4ed7a5d4f5a060d
	.amdgpu_metadata
---
amdhsa.kernels:
  - .args:
      - .actual_access:  read_only
        .address_space:  global
        .offset:         0
        .size:           8
        .value_kind:     global_buffer
      - .offset:         8
        .size:           8
        .value_kind:     by_value
      - .actual_access:  read_only
        .address_space:  global
        .offset:         16
        .size:           8
        .value_kind:     global_buffer
      - .actual_access:  read_only
        .address_space:  global
        .offset:         24
        .size:           8
        .value_kind:     global_buffer
      - .offset:         32
        .size:           8
        .value_kind:     by_value
      - .actual_access:  read_only
        .address_space:  global
        .offset:         40
        .size:           8
        .value_kind:     global_buffer
      - .actual_access:  read_only
        .address_space:  global
        .offset:         48
        .size:           8
        .value_kind:     global_buffer
      - .offset:         56
        .size:           4
        .value_kind:     by_value
      - .actual_access:  read_only
        .address_space:  global
        .offset:         64
        .size:           8
        .value_kind:     global_buffer
      - .actual_access:  read_only
        .address_space:  global
        .offset:         72
        .size:           8
        .value_kind:     global_buffer
      - .address_space:  global
        .offset:         80
        .size:           8
        .value_kind:     global_buffer
    .group_segment_fixed_size: 0
    .kernarg_segment_align: 8
    .kernarg_segment_size: 88
    .language:       OpenCL C
    .language_version:
      - 2
      - 0
    .max_flat_workgroup_size: 99
    .name:           fft_rtc_fwd_len330_factors_11_10_3_wgs_99_tpt_33_sp_ip_CI_unitstride_sbrr_dirReg
    .private_segment_fixed_size: 0
    .sgpr_count:     34
    .sgpr_spill_count: 0
    .symbol:         fft_rtc_fwd_len330_factors_11_10_3_wgs_99_tpt_33_sp_ip_CI_unitstride_sbrr_dirReg.kd
    .uniform_work_group_size: 1
    .uses_dynamic_stack: false
    .vgpr_count:     95
    .vgpr_spill_count: 0
    .wavefront_size: 32
    .workgroup_processor_mode: 1
amdhsa.target:   amdgcn-amd-amdhsa--gfx1201
amdhsa.version:
  - 1
  - 2
...

	.end_amdgpu_metadata
